;; amdgpu-corpus repo=ROCm/rocFFT kind=compiled arch=gfx906 opt=O3
	.text
	.amdgcn_target "amdgcn-amd-amdhsa--gfx906"
	.amdhsa_code_object_version 6
	.protected	fft_rtc_fwd_len1573_factors_13_11_11_wgs_143_tpt_143_half_op_CI_CI_unitstride_sbrr_dirReg ; -- Begin function fft_rtc_fwd_len1573_factors_13_11_11_wgs_143_tpt_143_half_op_CI_CI_unitstride_sbrr_dirReg
	.globl	fft_rtc_fwd_len1573_factors_13_11_11_wgs_143_tpt_143_half_op_CI_CI_unitstride_sbrr_dirReg
	.p2align	8
	.type	fft_rtc_fwd_len1573_factors_13_11_11_wgs_143_tpt_143_half_op_CI_CI_unitstride_sbrr_dirReg,@function
fft_rtc_fwd_len1573_factors_13_11_11_wgs_143_tpt_143_half_op_CI_CI_unitstride_sbrr_dirReg: ; @fft_rtc_fwd_len1573_factors_13_11_11_wgs_143_tpt_143_half_op_CI_CI_unitstride_sbrr_dirReg
; %bb.0:
	s_load_dwordx4 s[8:11], s[4:5], 0x58
	s_load_dwordx4 s[12:15], s[4:5], 0x0
	;; [unrolled: 1-line block ×3, first 2 shown]
	v_mul_u32_u24_e32 v1, 0x1cb, v0
	v_mov_b32_e32 v3, 0
	v_mov_b32_e32 v8, 0
	s_waitcnt lgkmcnt(0)
	v_cmp_lt_u64_e64 s[0:1], s[14:15], 2
	v_add_u32_sdwa v6, s6, v1 dst_sel:DWORD dst_unused:UNUSED_PAD src0_sel:DWORD src1_sel:WORD_1
	v_mov_b32_e32 v7, v3
	s_and_b64 vcc, exec, s[0:1]
	v_mov_b32_e32 v9, 0
	s_cbranch_vccnz .LBB0_8
; %bb.1:
	s_load_dwordx2 s[0:1], s[4:5], 0x10
	s_add_u32 s2, s18, 8
	s_addc_u32 s3, s19, 0
	s_add_u32 s6, s16, 8
	s_addc_u32 s7, s17, 0
	v_mov_b32_e32 v8, 0
	s_waitcnt lgkmcnt(0)
	s_add_u32 s20, s0, 8
	v_mov_b32_e32 v9, 0
	v_mov_b32_e32 v1, v8
	s_addc_u32 s21, s1, 0
	s_mov_b64 s[22:23], 1
	v_mov_b32_e32 v2, v9
.LBB0_2:                                ; =>This Inner Loop Header: Depth=1
	s_load_dwordx2 s[24:25], s[20:21], 0x0
	s_waitcnt lgkmcnt(0)
	v_or_b32_e32 v4, s25, v7
	v_cmp_ne_u64_e32 vcc, 0, v[3:4]
                                        ; implicit-def: $vgpr4_vgpr5
	s_and_saveexec_b64 s[0:1], vcc
	s_xor_b64 s[26:27], exec, s[0:1]
	s_cbranch_execz .LBB0_4
; %bb.3:                                ;   in Loop: Header=BB0_2 Depth=1
	v_cvt_f32_u32_e32 v4, s24
	v_cvt_f32_u32_e32 v5, s25
	s_sub_u32 s0, 0, s24
	s_subb_u32 s1, 0, s25
	v_mac_f32_e32 v4, 0x4f800000, v5
	v_rcp_f32_e32 v4, v4
	v_mul_f32_e32 v4, 0x5f7ffffc, v4
	v_mul_f32_e32 v5, 0x2f800000, v4
	v_trunc_f32_e32 v5, v5
	v_mac_f32_e32 v4, 0xcf800000, v5
	v_cvt_u32_f32_e32 v5, v5
	v_cvt_u32_f32_e32 v4, v4
	v_mul_lo_u32 v10, s0, v5
	v_mul_hi_u32 v11, s0, v4
	v_mul_lo_u32 v13, s1, v4
	v_mul_lo_u32 v12, s0, v4
	v_add_u32_e32 v10, v11, v10
	v_add_u32_e32 v10, v10, v13
	v_mul_hi_u32 v11, v4, v12
	v_mul_lo_u32 v13, v4, v10
	v_mul_hi_u32 v15, v4, v10
	v_mul_hi_u32 v14, v5, v12
	v_mul_lo_u32 v12, v5, v12
	v_mul_hi_u32 v16, v5, v10
	v_add_co_u32_e32 v11, vcc, v11, v13
	v_addc_co_u32_e32 v13, vcc, 0, v15, vcc
	v_mul_lo_u32 v10, v5, v10
	v_add_co_u32_e32 v11, vcc, v11, v12
	v_addc_co_u32_e32 v11, vcc, v13, v14, vcc
	v_addc_co_u32_e32 v12, vcc, 0, v16, vcc
	v_add_co_u32_e32 v10, vcc, v11, v10
	v_addc_co_u32_e32 v11, vcc, 0, v12, vcc
	v_add_co_u32_e32 v4, vcc, v4, v10
	v_addc_co_u32_e32 v5, vcc, v5, v11, vcc
	v_mul_lo_u32 v10, s0, v5
	v_mul_hi_u32 v11, s0, v4
	v_mul_lo_u32 v12, s1, v4
	v_mul_lo_u32 v13, s0, v4
	v_add_u32_e32 v10, v11, v10
	v_add_u32_e32 v10, v10, v12
	v_mul_lo_u32 v14, v4, v10
	v_mul_hi_u32 v15, v4, v13
	v_mul_hi_u32 v16, v4, v10
	v_mul_hi_u32 v12, v5, v13
	v_mul_lo_u32 v13, v5, v13
	v_mul_hi_u32 v11, v5, v10
	v_add_co_u32_e32 v14, vcc, v15, v14
	v_addc_co_u32_e32 v15, vcc, 0, v16, vcc
	v_mul_lo_u32 v10, v5, v10
	v_add_co_u32_e32 v13, vcc, v14, v13
	v_addc_co_u32_e32 v12, vcc, v15, v12, vcc
	v_addc_co_u32_e32 v11, vcc, 0, v11, vcc
	v_add_co_u32_e32 v10, vcc, v12, v10
	v_addc_co_u32_e32 v11, vcc, 0, v11, vcc
	v_add_co_u32_e32 v10, vcc, v4, v10
	v_addc_co_u32_e32 v11, vcc, v5, v11, vcc
	v_mad_u64_u32 v[4:5], s[0:1], v6, v11, 0
	v_mul_hi_u32 v12, v6, v10
	v_add_co_u32_e32 v12, vcc, v12, v4
	v_addc_co_u32_e32 v13, vcc, 0, v5, vcc
	v_mad_u64_u32 v[4:5], s[0:1], v7, v10, 0
	v_mad_u64_u32 v[10:11], s[0:1], v7, v11, 0
	v_add_co_u32_e32 v4, vcc, v12, v4
	v_addc_co_u32_e32 v4, vcc, v13, v5, vcc
	v_addc_co_u32_e32 v5, vcc, 0, v11, vcc
	v_add_co_u32_e32 v10, vcc, v4, v10
	v_addc_co_u32_e32 v11, vcc, 0, v5, vcc
	v_mul_lo_u32 v12, s25, v10
	v_mul_lo_u32 v13, s24, v11
	v_mad_u64_u32 v[4:5], s[0:1], s24, v10, 0
	v_add3_u32 v5, v5, v13, v12
	v_sub_u32_e32 v12, v7, v5
	v_mov_b32_e32 v13, s25
	v_sub_co_u32_e32 v4, vcc, v6, v4
	v_subb_co_u32_e64 v12, s[0:1], v12, v13, vcc
	v_subrev_co_u32_e64 v13, s[0:1], s24, v4
	v_subbrev_co_u32_e64 v12, s[0:1], 0, v12, s[0:1]
	v_cmp_le_u32_e64 s[0:1], s25, v12
	v_cndmask_b32_e64 v14, 0, -1, s[0:1]
	v_cmp_le_u32_e64 s[0:1], s24, v13
	v_cndmask_b32_e64 v13, 0, -1, s[0:1]
	v_cmp_eq_u32_e64 s[0:1], s25, v12
	v_cndmask_b32_e64 v12, v14, v13, s[0:1]
	v_add_co_u32_e64 v13, s[0:1], 2, v10
	v_addc_co_u32_e64 v14, s[0:1], 0, v11, s[0:1]
	v_add_co_u32_e64 v15, s[0:1], 1, v10
	v_addc_co_u32_e64 v16, s[0:1], 0, v11, s[0:1]
	v_subb_co_u32_e32 v5, vcc, v7, v5, vcc
	v_cmp_ne_u32_e64 s[0:1], 0, v12
	v_cmp_le_u32_e32 vcc, s25, v5
	v_cndmask_b32_e64 v12, v16, v14, s[0:1]
	v_cndmask_b32_e64 v14, 0, -1, vcc
	v_cmp_le_u32_e32 vcc, s24, v4
	v_cndmask_b32_e64 v4, 0, -1, vcc
	v_cmp_eq_u32_e32 vcc, s25, v5
	v_cndmask_b32_e32 v4, v14, v4, vcc
	v_cmp_ne_u32_e32 vcc, 0, v4
	v_cndmask_b32_e64 v4, v15, v13, s[0:1]
	v_cndmask_b32_e32 v5, v11, v12, vcc
	v_cndmask_b32_e32 v4, v10, v4, vcc
.LBB0_4:                                ;   in Loop: Header=BB0_2 Depth=1
	s_andn2_saveexec_b64 s[0:1], s[26:27]
	s_cbranch_execz .LBB0_6
; %bb.5:                                ;   in Loop: Header=BB0_2 Depth=1
	v_cvt_f32_u32_e32 v4, s24
	s_sub_i32 s26, 0, s24
	v_rcp_iflag_f32_e32 v4, v4
	v_mul_f32_e32 v4, 0x4f7ffffe, v4
	v_cvt_u32_f32_e32 v4, v4
	v_mul_lo_u32 v5, s26, v4
	v_mul_hi_u32 v5, v4, v5
	v_add_u32_e32 v4, v4, v5
	v_mul_hi_u32 v4, v6, v4
	v_mul_lo_u32 v5, v4, s24
	v_add_u32_e32 v10, 1, v4
	v_sub_u32_e32 v5, v6, v5
	v_subrev_u32_e32 v11, s24, v5
	v_cmp_le_u32_e32 vcc, s24, v5
	v_cndmask_b32_e32 v5, v5, v11, vcc
	v_cndmask_b32_e32 v4, v4, v10, vcc
	v_add_u32_e32 v10, 1, v4
	v_cmp_le_u32_e32 vcc, s24, v5
	v_cndmask_b32_e32 v4, v4, v10, vcc
	v_mov_b32_e32 v5, v3
.LBB0_6:                                ;   in Loop: Header=BB0_2 Depth=1
	s_or_b64 exec, exec, s[0:1]
	v_mul_lo_u32 v12, v5, s24
	v_mul_lo_u32 v13, v4, s25
	v_mad_u64_u32 v[10:11], s[0:1], v4, s24, 0
	s_load_dwordx2 s[0:1], s[6:7], 0x0
	s_load_dwordx2 s[24:25], s[2:3], 0x0
	v_add3_u32 v11, v11, v13, v12
	v_sub_co_u32_e32 v6, vcc, v6, v10
	v_subb_co_u32_e32 v7, vcc, v7, v11, vcc
	s_waitcnt lgkmcnt(0)
	v_mul_lo_u32 v10, s0, v7
	v_mul_lo_u32 v11, s1, v6
	v_mad_u64_u32 v[8:9], s[0:1], s0, v6, v[8:9]
	v_mul_lo_u32 v7, s24, v7
	v_mul_lo_u32 v12, s25, v6
	v_mad_u64_u32 v[1:2], s[0:1], s24, v6, v[1:2]
	s_add_u32 s22, s22, 1
	s_addc_u32 s23, s23, 0
	s_add_u32 s2, s2, 8
	v_add3_u32 v2, v12, v2, v7
	s_addc_u32 s3, s3, 0
	v_mov_b32_e32 v6, s14
	s_add_u32 s6, s6, 8
	v_mov_b32_e32 v7, s15
	s_addc_u32 s7, s7, 0
	v_cmp_ge_u64_e32 vcc, s[22:23], v[6:7]
	s_add_u32 s20, s20, 8
	v_add3_u32 v9, v11, v9, v10
	s_addc_u32 s21, s21, 0
	s_cbranch_vccnz .LBB0_9
; %bb.7:                                ;   in Loop: Header=BB0_2 Depth=1
	v_mov_b32_e32 v7, v5
	v_mov_b32_e32 v6, v4
	s_branch .LBB0_2
.LBB0_8:
	v_mov_b32_e32 v1, v8
	v_mov_b32_e32 v4, v6
	;; [unrolled: 1-line block ×4, first 2 shown]
.LBB0_9:
	s_lshl_b64 s[14:15], s[14:15], 3
	s_load_dwordx2 s[0:1], s[4:5], 0x28
	s_add_u32 s2, s18, s14
	s_mov_b32 s3, 0x1ca4b31
	v_mul_hi_u32 v3, v0, s3
	s_addc_u32 s3, s19, s15
	s_load_dwordx2 s[2:3], s[2:3], 0x0
	s_waitcnt lgkmcnt(0)
	v_cmp_gt_u64_e32 vcc, s[0:1], v[4:5]
	v_mul_u32_u24_e32 v3, 0x8f, v3
	v_sub_u32_e32 v6, v0, v3
	v_mov_b32_e32 v3, 0
                                        ; implicit-def: $vgpr21
                                        ; implicit-def: $vgpr0
                                        ; implicit-def: $vgpr22
                                        ; implicit-def: $vgpr7
                                        ; implicit-def: $vgpr23
                                        ; implicit-def: $vgpr10
                                        ; implicit-def: $vgpr24
                                        ; implicit-def: $vgpr11
                                        ; implicit-def: $vgpr25
                                        ; implicit-def: $vgpr12
                                        ; implicit-def: $vgpr26
                                        ; implicit-def: $vgpr13
                                        ; implicit-def: $vgpr32
                                        ; implicit-def: $vgpr19
                                        ; implicit-def: $vgpr27
                                        ; implicit-def: $vgpr18
                                        ; implicit-def: $vgpr28
                                        ; implicit-def: $vgpr17
                                        ; implicit-def: $vgpr29
                                        ; implicit-def: $vgpr16
                                        ; implicit-def: $vgpr30
                                        ; implicit-def: $vgpr15
                                        ; implicit-def: $vgpr31
                                        ; implicit-def: $vgpr14
                                        ; implicit-def: $vgpr20
	s_and_saveexec_b64 s[4:5], vcc
	s_cbranch_execz .LBB0_13
; %bb.10:
	s_movk_i32 s0, 0x79
	v_cmp_gt_u32_e64 s[0:1], s0, v6
                                        ; implicit-def: $vgpr20
                                        ; implicit-def: $vgpr14
                                        ; implicit-def: $vgpr31
                                        ; implicit-def: $vgpr15
                                        ; implicit-def: $vgpr30
                                        ; implicit-def: $vgpr16
                                        ; implicit-def: $vgpr29
                                        ; implicit-def: $vgpr17
                                        ; implicit-def: $vgpr28
                                        ; implicit-def: $vgpr18
                                        ; implicit-def: $vgpr27
                                        ; implicit-def: $vgpr19
                                        ; implicit-def: $vgpr32
                                        ; implicit-def: $vgpr13
                                        ; implicit-def: $vgpr26
                                        ; implicit-def: $vgpr12
                                        ; implicit-def: $vgpr25
                                        ; implicit-def: $vgpr11
                                        ; implicit-def: $vgpr24
                                        ; implicit-def: $vgpr10
                                        ; implicit-def: $vgpr23
                                        ; implicit-def: $vgpr7
                                        ; implicit-def: $vgpr22
                                        ; implicit-def: $vgpr0
                                        ; implicit-def: $vgpr21
	s_and_saveexec_b64 s[6:7], s[0:1]
	s_cbranch_execz .LBB0_12
; %bb.11:
	s_add_u32 s0, s16, s14
	s_addc_u32 s1, s17, s15
	s_load_dwordx2 s[0:1], s[0:1], 0x0
	v_mov_b32_e32 v12, s9
	v_lshlrev_b64 v[8:9], 2, v[8:9]
	v_mov_b32_e32 v7, 0
	s_waitcnt lgkmcnt(0)
	v_mul_lo_u32 v0, s1, v4
	v_mul_lo_u32 v3, s0, v5
	v_mad_u64_u32 v[10:11], s[0:1], s0, v4, 0
	v_add3_u32 v11, v11, v3, v0
	v_lshlrev_b64 v[10:11], 2, v[10:11]
	v_add_co_u32_e64 v0, s[0:1], s8, v10
	v_addc_co_u32_e64 v3, s[0:1], v12, v11, s[0:1]
	v_add_co_u32_e64 v0, s[0:1], v0, v8
	v_lshlrev_b64 v[7:8], 2, v[6:7]
	v_addc_co_u32_e64 v3, s[0:1], v3, v9, s[0:1]
	v_add_co_u32_e64 v21, s[0:1], v0, v7
	v_addc_co_u32_e64 v22, s[0:1], v3, v8, s[0:1]
	s_movk_i32 s0, 0x1000
	global_load_dword v0, v[21:22], off offset:484
	global_load_dword v7, v[21:22], off offset:968
	;; [unrolled: 1-line block ×7, first 2 shown]
	v_add_co_u32_e64 v8, s[0:1], s0, v21
	v_addc_co_u32_e64 v9, s[0:1], 0, v22, s[0:1]
	global_load_dword v15, v[21:22], off offset:3872
	global_load_dword v16, v[8:9], off offset:260
	;; [unrolled: 1-line block ×5, first 2 shown]
	global_load_dword v20, v[21:22], off
	s_waitcnt vmcnt(12)
	v_lshrrev_b32_e32 v21, 16, v0
	s_waitcnt vmcnt(11)
	v_lshrrev_b32_e32 v22, 16, v7
	s_waitcnt vmcnt(10)
	v_lshrrev_b32_e32 v23, 16, v10
	s_waitcnt vmcnt(9)
	v_lshrrev_b32_e32 v24, 16, v11
	s_waitcnt vmcnt(8)
	v_lshrrev_b32_e32 v25, 16, v12
	s_waitcnt vmcnt(7)
	v_lshrrev_b32_e32 v26, 16, v13
	s_waitcnt vmcnt(6)
	v_lshrrev_b32_e32 v31, 16, v14
	s_waitcnt vmcnt(5)
	v_lshrrev_b32_e32 v30, 16, v15
	s_waitcnt vmcnt(4)
	v_lshrrev_b32_e32 v29, 16, v16
	s_waitcnt vmcnt(3)
	v_lshrrev_b32_e32 v28, 16, v17
	s_waitcnt vmcnt(2)
	v_lshrrev_b32_e32 v27, 16, v18
	s_waitcnt vmcnt(1)
	v_lshrrev_b32_e32 v32, 16, v19
.LBB0_12:
	s_or_b64 exec, exec, s[6:7]
	v_mov_b32_e32 v3, v6
.LBB0_13:
	s_or_b64 exec, exec, s[4:5]
	s_movk_i32 s0, 0x79
	v_cmp_gt_u32_e64 s[0:1], s0, v6
	s_and_saveexec_b64 s[4:5], s[0:1]
	s_cbranch_execz .LBB0_15
; %bb.14:
	v_sub_f16_e32 v8, v0, v19
	v_mul_f16_e32 v9, 0xb3a8, v8
	v_add_f16_e32 v33, v21, v32
	s_mov_b32 s0, 0xbbc4
	v_sub_f16_e32 v35, v7, v18
	v_fma_f16 v34, v33, s0, v9
	s_movk_i32 s1, 0x3b15
	v_mul_f16_e32 v36, 0x3770, v35
	v_add_f16_e32 v37, v22, v27
	s_waitcnt vmcnt(0)
	v_add_f16_sdwa v34, v34, v20 dst_sel:DWORD dst_unused:UNUSED_PAD src0_sel:DWORD src1_sel:WORD_1
	v_fma_f16 v38, v37, s1, v36
	v_add_f16_e32 v34, v38, v34
	v_sub_f16_e32 v38, v10, v17
	s_mov_b32 s6, 0xb9fd
	v_mul_f16_e32 v39, 0xb94e, v38
	v_add_f16_e32 v40, v23, v28
	v_fma_f16 v41, v40, s6, v39
	v_add_f16_e32 v34, v41, v34
	v_sub_f16_e32 v41, v11, v16
	s_movk_i32 s7, 0x388b
	v_mul_f16_e32 v42, 0x3a95, v41
	v_add_f16_e32 v43, v24, v29
	v_fma_f16 v44, v43, s7, v42
	v_add_f16_e32 v34, v44, v34
	v_sub_f16_e32 v44, v12, v15
	s_mov_b32 s8, 0xb5ac
	v_mul_f16_e32 v45, 0xbb7b, v44
	v_add_f16_e32 v46, v25, v30
	v_fma_f16 v47, v46, s8, v45
	v_add_f16_e32 v34, v47, v34
	v_sub_f16_e32 v47, v13, v14
	s_movk_i32 s9, 0x2fb7
	v_mul_f16_e32 v48, 0x3bf1, v47
	v_add_f16_e32 v49, v26, v31
	v_fma_f16 v50, v49, s9, v48
	v_add_f16_e32 v34, v50, v34
	v_add_f16_e32 v50, v0, v19
	s_movk_i32 s18, 0x33a8
	v_mul_f16_e32 v51, 0xbbc4, v50
	v_sub_f16_e32 v52, v21, v32
	v_add_f16_e32 v54, v7, v18
	v_fma_f16 v53, v52, s18, v51
	s_mov_b32 s14, 0xb770
	v_mul_f16_e32 v55, 0x3b15, v54
	v_sub_f16_e32 v56, v22, v27
	v_add_f16_e32 v53, v53, v20
	v_fma_f16 v57, v56, s14, v55
	v_add_f16_e32 v53, v57, v53
	v_add_f16_e32 v57, v10, v17
	s_movk_i32 s16, 0x394e
	v_mul_f16_e32 v58, 0xb9fd, v57
	v_sub_f16_e32 v59, v23, v28
	v_fma_f16 v60, v59, s16, v58
	v_add_f16_e32 v53, v60, v53
	v_add_f16_e32 v60, v11, v16
	s_mov_b32 s15, 0xba95
	v_mul_f16_e32 v61, 0x388b, v60
	v_sub_f16_e32 v62, v24, v29
	v_fma_f16 v63, v62, s15, v61
	v_add_f16_e32 v53, v63, v53
	v_add_f16_e32 v63, v12, v15
	s_movk_i32 s20, 0x3b7b
	v_mul_f16_e32 v64, 0xb5ac, v63
	v_sub_f16_e32 v65, v25, v30
	v_fma_f16 v66, v65, s20, v64
	v_add_f16_e32 v53, v66, v53
	v_add_f16_e32 v66, v13, v14
	s_mov_b32 s17, 0xbbf1
	v_mul_f16_e32 v67, 0x2fb7, v66
	v_sub_f16_e32 v68, v26, v31
	v_fma_f16 v69, v68, s17, v67
	v_add_f16_e32 v53, v69, v53
	v_mul_f16_e32 v69, 0xb94e, v8
	v_fma_f16 v70, v33, s6, v69
	v_mul_f16_e32 v71, 0x3bf1, v35
	v_add_f16_sdwa v70, v70, v20 dst_sel:DWORD dst_unused:UNUSED_PAD src0_sel:DWORD src1_sel:WORD_1
	v_fma_f16 v72, v37, s9, v71
	v_add_f16_e32 v70, v72, v70
	v_mul_f16_e32 v72, 0xba95, v38
	v_fma_f16 v73, v40, s7, v72
	v_add_f16_e32 v70, v73, v70
	v_mul_f16_e32 v73, 0x33a8, v41
	;; [unrolled: 3-line block ×5, first 2 shown]
	v_fma_f16 v77, v52, s16, v76
	v_mul_f16_e32 v78, 0x2fb7, v54
	v_add_f16_e32 v77, v77, v20
	v_fma_f16 v79, v56, s17, v78
	v_add_f16_e32 v77, v79, v77
	s_movk_i32 s23, 0x3a95
	v_mul_f16_e32 v79, 0x388b, v57
	v_fma_f16 v80, v59, s23, v79
	v_add_f16_e32 v77, v80, v77
	s_mov_b32 s19, 0xb3a8
	v_mul_f16_e32 v80, 0xbbc4, v60
	v_fma_f16 v81, v62, s19, v80
	v_add_f16_e32 v77, v81, v77
	v_mul_f16_e32 v81, 0x3b15, v63
	v_fma_f16 v82, v65, s14, v81
	v_add_f16_e32 v77, v82, v77
	;; [unrolled: 3-line block ×3, first 2 shown]
	v_mul_f16_e32 v83, 0xbb7b, v8
	v_fma_f16 v84, v33, s8, v83
	v_mul_f16_e32 v85, 0x394e, v35
	v_add_f16_sdwa v84, v84, v20 dst_sel:DWORD dst_unused:UNUSED_PAD src0_sel:DWORD src1_sel:WORD_1
	v_fma_f16 v86, v37, s6, v85
	v_add_f16_e32 v84, v86, v84
	v_mul_f16_e32 v86, 0x3770, v38
	v_fma_f16 v87, v40, s1, v86
	v_add_f16_e32 v84, v87, v84
	v_mul_f16_e32 v87, 0xbbf1, v41
	;; [unrolled: 3-line block ×5, first 2 shown]
	s_mov_b32 s21, 0xb94e
	v_fma_f16 v91, v52, s20, v90
	v_mul_f16_e32 v92, 0xb9fd, v54
	v_add_f16_e32 v91, v91, v20
	v_fma_f16 v93, v56, s21, v92
	v_add_f16_e32 v91, v93, v91
	v_mul_f16_e32 v93, 0x3b15, v57
	v_fma_f16 v94, v59, s14, v93
	v_add_f16_e32 v91, v94, v91
	s_movk_i32 s22, 0x3bf1
	v_mul_f16_e32 v94, 0x2fb7, v60
	v_fma_f16 v95, v62, s22, v94
	v_add_f16_e32 v91, v95, v91
	v_mul_f16_e32 v95, 0xbbc4, v63
	v_fma_f16 v96, v65, s19, v95
	v_add_f16_e32 v91, v96, v91
	;; [unrolled: 3-line block ×3, first 2 shown]
	v_mul_f16_e32 v97, 0xbbf1, v8
	v_fma_f16 v98, v33, s9, v97
	v_mul_f16_e32 v99, 0xb3a8, v35
	v_fma_f16 v9, v33, s0, -v9
	v_add_f16_sdwa v98, v98, v20 dst_sel:DWORD dst_unused:UNUSED_PAD src0_sel:DWORD src1_sel:WORD_1
	v_fma_f16 v100, v37, s0, v99
	v_add_f16_sdwa v9, v9, v20 dst_sel:DWORD dst_unused:UNUSED_PAD src0_sel:DWORD src1_sel:WORD_1
	v_fma_f16 v36, v37, s1, -v36
	v_add_f16_e32 v98, v100, v98
	v_mul_f16_e32 v100, 0x3b7b, v38
	v_add_f16_e32 v9, v36, v9
	v_fma_f16 v36, v40, s6, -v39
	v_fma_f16 v101, v40, s8, v100
	v_add_f16_e32 v9, v36, v9
	v_fma_f16 v36, v43, s7, -v42
	v_add_f16_e32 v98, v101, v98
	v_mul_f16_e32 v101, 0x3770, v41
	v_add_f16_e32 v9, v36, v9
	v_fma_f16 v36, v46, s8, -v45
	v_fma_f16 v102, v43, s1, v101
	v_add_f16_e32 v9, v36, v9
	v_fma_f16 v36, v49, s9, -v48
	v_add_f16_e32 v98, v102, v98
	v_mul_f16_e32 v102, 0xba95, v44
	s_movk_i32 s25, 0x3770
	v_add_f16_e32 v9, v36, v9
	v_fma_f16 v36, v52, s19, v51
	v_fma_f16 v103, v46, s7, v102
	v_add_f16_e32 v36, v36, v20
	v_fma_f16 v39, v56, s25, v55
	v_add_f16_e32 v98, v103, v98
	v_mul_f16_e32 v103, 0xb94e, v47
	v_add_f16_e32 v36, v39, v36
	v_fma_f16 v39, v59, s21, v58
	v_fma_f16 v104, v49, s6, v103
	s_mov_b32 s24, 0xbb7b
	v_add_f16_e32 v36, v39, v36
	v_fma_f16 v39, v62, s23, v61
	v_add_f16_e32 v98, v104, v98
	v_mul_f16_e32 v104, 0x2fb7, v50
	v_add_f16_e32 v36, v39, v36
	v_fma_f16 v39, v65, s24, v64
	v_fma_f16 v105, v52, s22, v104
	v_mul_f16_e32 v106, 0xbbc4, v54
	v_add_f16_e32 v36, v39, v36
	v_fma_f16 v39, v68, s22, v67
	v_add_f16_e32 v105, v105, v20
	v_fma_f16 v107, v56, s18, v106
	v_add_f16_e32 v36, v39, v36
	v_fma_f16 v39, v33, s6, -v69
	v_add_f16_e32 v105, v107, v105
	v_mul_f16_e32 v107, 0xb5ac, v57
	v_add_f16_sdwa v39, v39, v20 dst_sel:DWORD dst_unused:UNUSED_PAD src0_sel:DWORD src1_sel:WORD_1
	v_fma_f16 v42, v37, s9, -v71
	v_fma_f16 v108, v59, s24, v107
	v_add_f16_e32 v39, v42, v39
	v_fma_f16 v42, v40, s7, -v72
	v_add_f16_e32 v105, v108, v105
	v_mul_f16_e32 v108, 0x3b15, v60
	v_add_f16_e32 v39, v42, v39
	v_fma_f16 v42, v43, s0, -v73
	v_fma_f16 v109, v62, s14, v108
	v_add_f16_e32 v39, v42, v39
	v_fma_f16 v42, v46, s1, -v74
	v_add_f16_e32 v105, v109, v105
	v_mul_f16_e32 v109, 0x388b, v63
	v_add_f16_e32 v39, v42, v39
	v_fma_f16 v42, v49, s8, -v75
	v_fma_f16 v110, v65, s23, v109
	v_add_f16_e32 v39, v42, v39
	v_fma_f16 v42, v52, s21, v76
	v_add_f16_e32 v105, v110, v105
	v_mul_f16_e32 v110, 0xb9fd, v66
	v_add_f16_e32 v42, v42, v20
	v_fma_f16 v45, v56, s22, v78
	v_fma_f16 v111, v68, s16, v110
	v_add_f16_e32 v42, v45, v42
	v_fma_f16 v45, v59, s15, v79
	v_add_f16_e32 v105, v111, v105
	v_mul_f16_e32 v111, 0xba95, v8
	v_add_f16_e32 v42, v45, v42
	v_fma_f16 v45, v62, s18, v80
	v_fma_f16 v112, v33, s7, v111
	v_mul_f16_e32 v113, 0xbb7b, v35
	v_add_f16_e32 v42, v45, v42
	v_fma_f16 v45, v65, s25, v81
	v_add_f16_sdwa v112, v112, v20 dst_sel:DWORD dst_unused:UNUSED_PAD src0_sel:DWORD src1_sel:WORD_1
	v_fma_f16 v114, v37, s8, v113
	v_add_f16_e32 v42, v45, v42
	v_fma_f16 v45, v68, s24, v82
	v_add_f16_e32 v112, v114, v112
	v_mul_f16_e32 v114, 0xb3a8, v38
	v_add_f16_e32 v42, v45, v42
	v_fma_f16 v45, v33, s8, -v83
	v_fma_f16 v115, v40, s0, v114
	v_add_f16_sdwa v45, v45, v20 dst_sel:DWORD dst_unused:UNUSED_PAD src0_sel:DWORD src1_sel:WORD_1
	v_fma_f16 v48, v37, s6, -v85
	v_add_f16_e32 v112, v115, v112
	v_mul_f16_e32 v115, 0x394e, v41
	v_add_f16_e32 v45, v48, v45
	v_fma_f16 v48, v40, s1, -v86
	v_fma_f16 v116, v43, s6, v115
	v_add_f16_e32 v45, v48, v45
	v_fma_f16 v48, v43, s9, -v87
	v_add_f16_e32 v112, v116, v112
	v_mul_f16_e32 v116, 0x3bf1, v44
	v_add_f16_e32 v45, v48, v45
	v_fma_f16 v48, v46, s0, -v88
	v_fma_f16 v117, v46, s9, v116
	v_add_f16_e32 v45, v48, v45
	v_fma_f16 v48, v49, s7, -v89
	v_add_f16_e32 v112, v117, v112
	v_mul_f16_e32 v117, 0x3770, v47
	v_add_f16_e32 v45, v48, v45
	v_fma_f16 v48, v52, s24, v90
	v_fma_f16 v118, v49, s1, v117
	v_add_f16_e32 v48, v48, v20
	v_fma_f16 v51, v56, s16, v92
	v_add_f16_e32 v112, v118, v112
	v_mul_f16_e32 v118, 0x388b, v50
	v_add_f16_e32 v48, v51, v48
	v_fma_f16 v51, v59, s25, v93
	v_fma_f16 v119, v52, s23, v118
	v_mul_f16_e32 v120, 0xb5ac, v54
	v_add_f16_e32 v48, v51, v48
	v_fma_f16 v51, v62, s17, v94
	v_add_f16_e32 v119, v119, v20
	v_fma_f16 v121, v56, s20, v120
	;; [unrolled: 2-line block ×3, first 2 shown]
	v_add_f16_e32 v119, v121, v119
	v_mul_f16_e32 v121, 0xbbc4, v57
	v_add_f16_e32 v48, v51, v48
	v_fma_f16 v51, v68, s23, v96
	v_fma_f16 v122, v59, s18, v121
	v_add_f16_e32 v48, v51, v48
	v_fma_f16 v51, v33, s9, -v97
	v_add_f16_e32 v119, v122, v119
	v_mul_f16_e32 v122, 0xb9fd, v60
	v_add_f16_sdwa v51, v51, v20 dst_sel:DWORD dst_unused:UNUSED_PAD src0_sel:DWORD src1_sel:WORD_1
	v_fma_f16 v55, v37, s0, -v99
	v_fma_f16 v123, v62, s21, v122
	v_add_f16_e32 v51, v55, v51
	v_fma_f16 v55, v40, s8, -v100
	v_add_f16_e32 v119, v123, v119
	v_mul_f16_e32 v123, 0x2fb7, v63
	v_add_f16_e32 v51, v55, v51
	v_fma_f16 v55, v43, s1, -v101
	v_fma_f16 v124, v65, s17, v123
	v_add_f16_e32 v51, v55, v51
	v_fma_f16 v55, v46, s7, -v102
	v_add_f16_e32 v119, v124, v119
	v_mul_f16_e32 v124, 0x3b15, v66
	v_add_f16_e32 v51, v55, v51
	v_fma_f16 v55, v49, s6, -v103
	v_fma_f16 v125, v68, s14, v124
	v_mul_f16_e32 v8, 0xb770, v8
	v_add_f16_e32 v51, v55, v51
	v_fma_f16 v55, v52, s17, v104
	v_add_f16_e32 v119, v125, v119
	v_fma_f16 v125, v33, s1, v8
	v_mul_f16_e32 v35, 0xba95, v35
	v_add_f16_e32 v55, v55, v20
	v_fma_f16 v58, v56, s19, v106
	v_add_f16_sdwa v21, v21, v20 dst_sel:DWORD dst_unused:UNUSED_PAD src0_sel:DWORD src1_sel:WORD_1
	v_add_f16_e32 v0, v0, v20
	v_add_f16_sdwa v125, v125, v20 dst_sel:DWORD dst_unused:UNUSED_PAD src0_sel:DWORD src1_sel:WORD_1
	v_fma_f16 v126, v37, s7, v35
	v_mul_f16_e32 v38, 0xbbf1, v38
	v_add_f16_e32 v55, v58, v55
	v_fma_f16 v58, v59, s20, v107
	v_add_f16_e32 v21, v22, v21
	v_add_f16_e32 v0, v7, v0
	v_add_f16_e32 v125, v126, v125
	v_fma_f16 v126, v40, s9, v38
	v_mul_f16_e32 v41, 0xbb7b, v41
	v_add_f16_e32 v55, v58, v55
	v_fma_f16 v58, v62, s25, v108
	v_add_f16_e32 v21, v23, v21
	v_add_f16_e32 v0, v10, v0
	v_add_f16_e32 v125, v126, v125
	;; [unrolled: 7-line block ×4, first 2 shown]
	v_fma_f16 v126, v49, s0, v47
	v_mul_f16_e32 v50, 0x3b15, v50
	v_add_f16_e32 v55, v58, v55
	v_fma_f16 v58, v33, s7, -v111
	v_fma_f16 v8, v33, s1, -v8
	v_add_f16_e32 v21, v26, v21
	v_add_f16_e32 v0, v13, v0
	;; [unrolled: 1-line block ×3, first 2 shown]
	v_fma_f16 v126, v52, s25, v50
	v_mul_f16_e32 v54, 0x388b, v54
	v_add_f16_sdwa v58, v58, v20 dst_sel:DWORD dst_unused:UNUSED_PAD src0_sel:DWORD src1_sel:WORD_1
	v_fma_f16 v61, v37, s8, -v113
	v_fma_f16 v33, v37, s7, -v35
	v_add_f16_sdwa v8, v8, v20 dst_sel:DWORD dst_unused:UNUSED_PAD src0_sel:DWORD src1_sel:WORD_1
	v_add_f16_e32 v21, v31, v21
	v_add_f16_e32 v0, v14, v0
	v_add_f16_e32 v126, v126, v20
	v_fma_f16 v127, v56, s23, v54
	v_mul_f16_e32 v57, 0x2fb7, v57
	v_add_f16_e32 v58, v61, v58
	v_fma_f16 v61, v40, s0, -v114
	v_add_f16_e32 v8, v33, v8
	v_fma_f16 v33, v40, s9, -v38
	v_add_f16_e32 v21, v30, v21
	v_add_f16_e32 v0, v15, v0
	v_add_f16_e32 v126, v127, v126
	v_fma_f16 v127, v59, s22, v57
	v_mul_f16_e32 v60, 0xb5ac, v60
	v_add_f16_e32 v58, v61, v58
	v_fma_f16 v61, v43, s6, -v115
	v_add_f16_e32 v8, v33, v8
	v_fma_f16 v33, v43, s8, -v41
	;; [unrolled: 9-line block ×4, first 2 shown]
	v_add_f16_e32 v21, v27, v21
	v_add_f16_e32 v0, v18, v0
	;; [unrolled: 1-line block ×3, first 2 shown]
	v_fma_f16 v127, v68, s18, v66
	v_add_f16_e32 v58, v61, v58
	v_fma_f16 v61, v52, s15, v118
	v_add_f16_e32 v8, v33, v8
	v_fma_f16 v33, v52, s14, v50
	v_add_f16_sdwa v21, v32, v21 dst_sel:WORD_1 dst_unused:UNUSED_PAD src0_sel:DWORD src1_sel:DWORD
	v_add_f16_e32 v0, v19, v0
	v_add_f16_e32 v126, v127, v126
	;; [unrolled: 1-line block ×3, first 2 shown]
	v_fma_f16 v64, v56, s24, v120
	v_fma_f16 v35, v56, s15, v54
	v_add_f16_e32 v33, v33, v20
	v_or_b32_e32 v0, v21, v0
	v_mad_u32_u24 v7, v6, 52, 0
	v_add_f16_e32 v61, v64, v61
	v_fma_f16 v64, v59, s19, v121
	v_add_f16_e32 v33, v35, v33
	v_fma_f16 v35, v59, s17, v57
	ds_write_b32 v7, v0
	v_pack_b32_f16 v0, v119, v112
	v_pack_b32_f16 v10, v126, v125
	v_add_f16_e32 v61, v64, v61
	v_fma_f16 v64, v62, s16, v122
	v_add_f16_e32 v33, v35, v33
	v_fma_f16 v35, v62, s24, v60
	ds_write2_b32 v7, v10, v0 offset0:1 offset1:2
	v_pack_b32_f16 v0, v91, v84
	v_pack_b32_f16 v10, v105, v98
	v_add_f16_e32 v61, v64, v61
	v_fma_f16 v64, v65, s22, v123
	v_add_f16_e32 v33, v35, v33
	v_fma_f16 v35, v65, s21, v63
	ds_write2_b32 v7, v10, v0 offset0:3 offset1:4
	;; [unrolled: 7-line block ×3, first 2 shown]
	v_pack_b32_f16 v0, v42, v39
	v_pack_b32_f16 v9, v36, v9
	v_add_f16_e32 v61, v64, v61
	v_add_f16_e32 v33, v35, v33
	ds_write2_b32 v7, v9, v0 offset0:7 offset1:8
	v_pack_b32_f16 v0, v55, v51
	v_pack_b32_f16 v9, v48, v45
	ds_write2_b32 v7, v9, v0 offset0:9 offset1:10
	v_pack_b32_f16 v0, v33, v8
	v_pack_b32_f16 v8, v61, v58
	ds_write2_b32 v7, v8, v0 offset0:11 offset1:12
.LBB0_15:
	s_or_b64 exec, exec, s[4:5]
	s_movk_i32 s0, 0x4f
	v_mul_lo_u16_sdwa v0, v6, s0 dst_sel:DWORD dst_unused:UNUSED_PAD src0_sel:BYTE_0 src1_sel:DWORD
	v_lshrrev_b16_e32 v31, 10, v0
	v_mul_lo_u16_e32 v0, 13, v31
	v_sub_u16_e32 v32, v6, v0
	v_mov_b32_e32 v0, 10
	v_mul_u32_u24_sdwa v0, v32, v0 dst_sel:DWORD dst_unused:UNUSED_PAD src0_sel:BYTE_0 src1_sel:DWORD
	v_lshlrev_b32_e32 v0, 2, v0
	s_waitcnt vmcnt(0) lgkmcnt(0)
	s_barrier
	global_load_dwordx4 v[11:14], v0, s[12:13]
	global_load_dwordx4 v[15:18], v0, s[12:13] offset:16
	global_load_dwordx2 v[19:20], v0, s[12:13] offset:32
	v_lshl_add_u32 v8, v6, 2, 0
	ds_read2_b32 v[21:22], v8 offset1:143
	v_add_u32_e32 v9, 0x400, v8
	v_add_u32_e32 v0, 0x800, v8
	;; [unrolled: 1-line block ×4, first 2 shown]
	ds_read_b32 v33, v8 offset:5720
	ds_read2_b32 v[23:24], v9 offset0:30 offset1:173
	ds_read2_b32 v[25:26], v7 offset0:90 offset1:233
	;; [unrolled: 1-line block ×4, first 2 shown]
	s_waitcnt lgkmcnt(5)
	v_lshrrev_b32_e32 v35, 16, v22
	s_waitcnt lgkmcnt(4)
	v_lshrrev_b32_e32 v34, 16, v33
	;; [unrolled: 2-line block ×3, first 2 shown]
	v_lshrrev_b32_e32 v41, 16, v24
	s_waitcnt lgkmcnt(1)
	v_lshrrev_b32_e32 v42, 16, v27
	v_lshrrev_b32_e32 v43, 16, v28
	;; [unrolled: 1-line block ×4, first 2 shown]
	s_waitcnt lgkmcnt(0)
	v_lshrrev_b32_e32 v38, 16, v29
	v_lshrrev_b32_e32 v39, 16, v30
	s_movk_i32 s0, 0x3abb
	s_movk_i32 s1, 0x36a6
	s_mov_b32 s4, 0xb08e
	s_mov_b32 s5, 0xb93d
	;; [unrolled: 1-line block ×3, first 2 shown]
	s_waitcnt vmcnt(0)
	s_barrier
	s_mov_b32 s9, 0xb853
	s_mov_b32 s14, 0xbb47
	s_mov_b32 s7, 0xbbeb
	s_mov_b32 s8, 0xba0c
	s_mov_b32 s15, 0xb482
	s_movk_i32 s17, 0x3482
	s_movk_i32 s18, 0x3beb
	;; [unrolled: 1-line block ×4, first 2 shown]
	v_mul_f16_sdwa v44, v11, v35 dst_sel:DWORD dst_unused:UNUSED_PAD src0_sel:WORD_1 src1_sel:DWORD
	v_mul_f16_sdwa v45, v11, v22 dst_sel:DWORD dst_unused:UNUSED_PAD src0_sel:WORD_1 src1_sel:DWORD
	;; [unrolled: 1-line block ×4, first 2 shown]
	v_mul_f16_sdwa v62, v34, v20 dst_sel:DWORD dst_unused:UNUSED_PAD src0_sel:DWORD src1_sel:WORD_1
	v_mul_f16_sdwa v63, v33, v20 dst_sel:DWORD dst_unused:UNUSED_PAD src0_sel:DWORD src1_sel:WORD_1
	v_fma_f16 v22, v11, v22, -v44
	v_fma_f16 v11, v11, v35, v45
	v_mul_f16_sdwa v48, v13, v41 dst_sel:DWORD dst_unused:UNUSED_PAD src0_sel:WORD_1 src1_sel:DWORD
	v_mul_f16_sdwa v49, v13, v24 dst_sel:DWORD dst_unused:UNUSED_PAD src0_sel:WORD_1 src1_sel:DWORD
	v_fma_f16 v23, v12, v23, -v46
	v_fma_f16 v12, v12, v40, v47
	v_fma_f16 v33, v33, v20, -v62
	v_fma_f16 v20, v34, v20, v63
	v_add_f16_e32 v34, v22, v21
	v_add_f16_sdwa v35, v11, v21 dst_sel:DWORD dst_unused:UNUSED_PAD src0_sel:DWORD src1_sel:WORD_1
	v_mul_f16_sdwa v50, v14, v42 dst_sel:DWORD dst_unused:UNUSED_PAD src0_sel:WORD_1 src1_sel:DWORD
	v_mul_f16_sdwa v51, v14, v27 dst_sel:DWORD dst_unused:UNUSED_PAD src0_sel:WORD_1 src1_sel:DWORD
	v_fma_f16 v24, v13, v24, -v48
	v_fma_f16 v13, v13, v41, v49
	v_add_f16_e32 v34, v34, v23
	v_add_f16_e32 v35, v35, v12
	v_mul_f16_sdwa v52, v15, v43 dst_sel:DWORD dst_unused:UNUSED_PAD src0_sel:WORD_1 src1_sel:DWORD
	v_mul_f16_sdwa v53, v15, v28 dst_sel:DWORD dst_unused:UNUSED_PAD src0_sel:WORD_1 src1_sel:DWORD
	v_fma_f16 v27, v14, v27, -v50
	v_fma_f16 v14, v14, v42, v51
	v_add_f16_e32 v34, v34, v24
	v_add_f16_e32 v35, v35, v13
	v_mul_f16_sdwa v54, v36, v16 dst_sel:DWORD dst_unused:UNUSED_PAD src0_sel:DWORD src1_sel:WORD_1
	v_mul_f16_sdwa v55, v25, v16 dst_sel:DWORD dst_unused:UNUSED_PAD src0_sel:DWORD src1_sel:WORD_1
	v_fma_f16 v28, v15, v28, -v52
	v_fma_f16 v15, v15, v43, v53
	v_add_f16_e32 v34, v34, v27
	v_add_f16_e32 v35, v35, v14
	v_mul_f16_sdwa v56, v37, v17 dst_sel:DWORD dst_unused:UNUSED_PAD src0_sel:DWORD src1_sel:WORD_1
	v_mul_f16_sdwa v57, v26, v17 dst_sel:DWORD dst_unused:UNUSED_PAD src0_sel:DWORD src1_sel:WORD_1
	;; [unrolled: 6-line block ×4, first 2 shown]
	v_fma_f16 v29, v29, v18, -v58
	v_fma_f16 v18, v38, v18, v59
	v_add_f16_e32 v34, v34, v26
	v_add_f16_e32 v35, v35, v17
	v_fma_f16 v30, v30, v19, -v60
	v_fma_f16 v19, v39, v19, v61
	v_add_f16_e32 v34, v34, v29
	v_add_f16_e32 v35, v35, v18
	;; [unrolled: 1-line block ×6, first 2 shown]
	v_sub_f16_e32 v22, v22, v33
	v_sub_f16_e32 v11, v11, v20
	v_add_f16_e32 v33, v34, v33
	v_add_f16_sdwa v20, v35, v20 dst_sel:WORD_1 dst_unused:UNUSED_PAD src0_sel:DWORD src1_sel:DWORD
	v_or_b32_e32 v20, v20, v33
	v_mul_f16_e32 v33, 0xb853, v11
	v_mul_f16_e32 v35, 0xb853, v22
	;; [unrolled: 1-line block ×10, first 2 shown]
	v_fma_f16 v34, v36, s0, -v33
	v_fma_f16 v38, v37, s0, v35
	v_fma_f16 v33, v36, s0, v33
	v_fma_f16 v35, v37, s0, -v35
	v_fma_f16 v40, v36, s1, -v39
	v_fma_f16 v42, v37, s1, v41
	v_fma_f16 v39, v36, s1, v39
	v_fma_f16 v41, v37, s1, -v41
	;; [unrolled: 4-line block ×5, first 2 shown]
	v_add_f16_e32 v36, v12, v19
	v_sub_f16_e32 v12, v12, v19
	v_add_f16_e32 v34, v34, v21
	v_add_f16_sdwa v38, v38, v21 dst_sel:DWORD dst_unused:UNUSED_PAD src0_sel:DWORD src1_sel:WORD_1
	v_add_f16_e32 v33, v33, v21
	v_add_f16_sdwa v35, v35, v21 dst_sel:DWORD dst_unused:UNUSED_PAD src0_sel:DWORD src1_sel:WORD_1
	;; [unrolled: 2-line block ×10, first 2 shown]
	v_add_f16_e32 v22, v23, v30
	v_mul_f16_e32 v19, 0xbb47, v12
	v_sub_f16_e32 v23, v23, v30
	v_fma_f16 v30, v22, s1, -v19
	v_add_f16_e32 v30, v30, v34
	v_mul_f16_e32 v34, 0xbb47, v23
	v_fma_f16 v19, v22, s1, v19
	v_fma_f16 v37, v36, s1, v34
	v_add_f16_e32 v19, v19, v33
	v_fma_f16 v33, v36, s1, -v34
	v_mul_f16_e32 v34, 0xba0c, v12
	v_add_f16_e32 v37, v37, v38
	v_add_f16_e32 v33, v33, v35
	v_fma_f16 v35, v22, s5, -v34
	v_mul_f16_e32 v38, 0xba0c, v23
	v_fma_f16 v34, v22, s5, v34
	v_add_f16_e32 v35, v35, v40
	v_fma_f16 v40, v36, s5, v38
	v_add_f16_e32 v34, v34, v39
	v_fma_f16 v38, v36, s5, -v38
	v_mul_f16_e32 v39, 0x3482, v12
	v_add_f16_e32 v40, v40, v42
	v_add_f16_e32 v38, v38, v41
	v_fma_f16 v41, v22, s6, -v39
	v_mul_f16_e32 v42, 0x3482, v23
	v_fma_f16 v39, v22, s6, v39
	v_add_f16_e32 v41, v41, v44
	v_fma_f16 v44, v36, s6, v42
	v_add_f16_e32 v39, v39, v43
	v_fma_f16 v42, v36, s6, -v42
	v_mul_f16_e32 v43, 0x3beb, v12
	v_add_f16_e32 v42, v42, v45
	v_fma_f16 v45, v22, s4, -v43
	v_fma_f16 v43, v22, s4, v43
	v_mul_f16_e32 v12, 0x3853, v12
	v_add_f16_e32 v44, v44, v46
	v_mul_f16_e32 v46, 0x3beb, v23
	v_add_f16_e32 v43, v43, v47
	v_fma_f16 v47, v22, s0, -v12
	v_mul_f16_e32 v23, 0x3853, v23
	v_fma_f16 v12, v22, s0, v12
	v_add_f16_e32 v45, v45, v48
	v_fma_f16 v48, v36, s4, v46
	v_fma_f16 v46, v36, s4, -v46
	v_add_f16_e32 v11, v12, v11
	v_fma_f16 v12, v36, s0, -v23
	v_add_f16_e32 v22, v13, v18
	v_sub_f16_e32 v13, v13, v18
	v_add_f16_e32 v46, v46, v49
	v_fma_f16 v49, v36, s0, v23
	v_add_f16_e32 v12, v12, v21
	v_add_f16_e32 v21, v24, v29
	v_sub_f16_e32 v23, v24, v29
	v_mul_f16_e32 v18, 0xbbeb, v13
	v_fma_f16 v24, v21, s4, -v18
	v_mul_f16_e32 v29, 0xbbeb, v23
	v_fma_f16 v18, v21, s4, v18
	v_add_f16_e32 v24, v24, v30
	v_fma_f16 v30, v22, s4, v29
	v_add_f16_e32 v18, v18, v19
	v_fma_f16 v19, v22, s4, -v29
	v_mul_f16_e32 v29, 0x3482, v13
	v_add_f16_e32 v19, v19, v33
	v_fma_f16 v33, v21, s6, -v29
	v_add_f16_e32 v33, v33, v35
	v_mul_f16_e32 v35, 0x3482, v23
	v_fma_f16 v29, v21, s6, v29
	v_fma_f16 v36, v22, s6, v35
	v_add_f16_e32 v29, v29, v34
	v_fma_f16 v34, v22, s6, -v35
	v_mul_f16_e32 v35, 0x3b47, v13
	v_add_f16_e32 v30, v30, v37
	v_fma_f16 v37, v21, s1, -v35
	v_fma_f16 v35, v21, s1, v35
	v_add_f16_e32 v34, v34, v38
	v_mul_f16_e32 v38, 0x3b47, v23
	v_add_f16_e32 v35, v35, v39
	v_mul_f16_e32 v39, 0xb853, v13
	v_add_f16_e32 v36, v36, v40
	v_add_f16_e32 v37, v37, v41
	v_fma_f16 v40, v22, s1, v38
	v_fma_f16 v38, v22, s1, -v38
	v_fma_f16 v41, v21, s0, -v39
	v_fma_f16 v39, v21, s0, v39
	v_mul_f16_e32 v13, 0xba0c, v13
	v_add_f16_e32 v38, v38, v42
	v_mul_f16_e32 v42, 0xb853, v23
	v_add_f16_e32 v39, v39, v43
	v_fma_f16 v43, v21, s5, -v13
	v_mul_f16_e32 v23, 0xba0c, v23
	v_fma_f16 v13, v21, s5, v13
	v_add_f16_e32 v11, v13, v11
	v_fma_f16 v13, v22, s5, -v23
	v_add_f16_e32 v21, v14, v17
	v_sub_f16_e32 v14, v14, v17
	v_add_f16_e32 v12, v13, v12
	v_add_f16_e32 v13, v27, v26
	v_mul_f16_e32 v17, 0xba0c, v14
	v_add_f16_e32 v40, v40, v44
	v_add_f16_e32 v41, v41, v45
	v_fma_f16 v44, v22, s0, v42
	v_fma_f16 v42, v22, s0, -v42
	v_fma_f16 v45, v22, s5, v23
	v_sub_f16_e32 v22, v27, v26
	v_fma_f16 v23, v13, s5, -v17
	v_add_f16_e32 v23, v23, v24
	v_mul_f16_e32 v24, 0xba0c, v22
	v_fma_f16 v17, v13, s5, v17
	v_add_f16_e32 v17, v17, v18
	v_fma_f16 v18, v21, s5, -v24
	v_add_f16_e32 v18, v18, v19
	v_mul_f16_e32 v19, 0x3beb, v14
	v_fma_f16 v26, v21, s5, v24
	v_fma_f16 v24, v13, s4, -v19
	v_fma_f16 v19, v13, s4, v19
	v_mul_f16_e32 v27, 0x3beb, v22
	v_add_f16_e32 v19, v19, v29
	v_mul_f16_e32 v29, 0xb853, v14
	v_add_f16_e32 v26, v26, v30
	v_add_f16_e32 v24, v24, v33
	v_fma_f16 v30, v21, s4, v27
	v_fma_f16 v27, v21, s4, -v27
	v_fma_f16 v33, v13, s0, -v29
	v_fma_f16 v29, v13, s0, v29
	v_add_f16_e32 v27, v27, v34
	v_mul_f16_e32 v34, 0xb853, v22
	v_add_f16_e32 v29, v29, v35
	v_mul_f16_e32 v35, 0xb482, v14
	v_add_f16_e32 v30, v30, v36
	v_add_f16_e32 v33, v33, v37
	v_fma_f16 v36, v21, s0, v34
	v_fma_f16 v34, v21, s0, -v34
	v_fma_f16 v37, v13, s6, -v35
	v_fma_f16 v35, v13, s6, v35
	v_mul_f16_e32 v14, 0x3b47, v14
	v_add_f16_e32 v34, v34, v38
	v_mul_f16_e32 v38, 0xb482, v22
	v_add_f16_e32 v35, v35, v39
	v_fma_f16 v39, v13, s1, -v14
	v_mul_f16_e32 v22, 0x3b47, v22
	v_fma_f16 v13, v13, s1, v14
	v_add_f16_e32 v11, v13, v11
	v_fma_f16 v13, v21, s1, -v22
	v_add_f16_e32 v14, v15, v16
	v_sub_f16_e32 v15, v15, v16
	v_add_f16_e32 v12, v13, v12
	v_add_f16_e32 v13, v28, v25
	v_mul_f16_e32 v16, 0xb482, v15
	v_add_f16_e32 v36, v36, v40
	v_add_f16_e32 v37, v37, v41
	v_fma_f16 v40, v21, s6, v38
	v_fma_f16 v38, v21, s6, -v38
	v_fma_f16 v41, v21, s1, v22
	v_sub_f16_e32 v21, v28, v25
	v_fma_f16 v22, v13, s6, -v16
	v_add_f16_e32 v22, v22, v23
	v_mul_f16_e32 v23, 0xb482, v21
	v_fma_f16 v16, v13, s6, v16
	v_add_f16_e32 v16, v16, v17
	v_fma_f16 v17, v14, s6, -v23
	v_add_f16_e32 v17, v17, v18
	v_mul_f16_e32 v18, 0x3853, v15
	v_fma_f16 v25, v14, s6, v23
	v_fma_f16 v23, v13, s0, -v18
	v_add_f16_e32 v23, v23, v24
	v_mul_f16_e32 v24, 0x3853, v21
	v_fma_f16 v18, v13, s0, v18
	v_add_f16_e32 v25, v25, v26
	v_fma_f16 v26, v14, s0, v24
	v_add_f16_e32 v18, v18, v19
	v_fma_f16 v19, v14, s0, -v24
	v_mul_f16_e32 v24, 0xba0c, v15
	v_add_f16_e32 v19, v19, v27
	v_fma_f16 v27, v13, s5, -v24
	v_fma_f16 v24, v13, s5, v24
	v_mul_f16_e32 v28, 0xba0c, v21
	v_add_f16_e32 v24, v24, v29
	v_mul_f16_e32 v29, 0x3b47, v15
	v_add_f16_e32 v26, v26, v30
	v_add_f16_e32 v27, v27, v33
	v_fma_f16 v30, v14, s5, v28
	v_fma_f16 v28, v14, s5, -v28
	v_fma_f16 v33, v13, s1, -v29
	v_fma_f16 v29, v13, s1, v29
	v_mul_f16_e32 v15, 0xbbeb, v15
	v_add_f16_e32 v42, v42, v46
	v_add_f16_e32 v28, v28, v34
	v_mul_f16_e32 v34, 0x3b47, v21
	v_add_f16_e32 v29, v29, v35
	v_fma_f16 v35, v13, s4, -v15
	v_mul_f16_e32 v21, 0xbbeb, v21
	v_fma_f16 v13, v13, s4, v15
	v_add_f16_e32 v48, v48, v50
	v_add_f16_e32 v47, v47, v51
	;; [unrolled: 1-line block ×6, first 2 shown]
	v_fma_f16 v36, v14, s1, v34
	v_fma_f16 v34, v14, s1, -v34
	v_fma_f16 v37, v14, s4, v21
	v_add_f16_e32 v11, v13, v11
	v_fma_f16 v13, v14, s4, -v21
	v_mov_b32_e32 v14, 2
	v_add_f16_e32 v44, v44, v48
	v_add_f16_e32 v43, v43, v47
	;; [unrolled: 1-line block ×5, first 2 shown]
	v_mul_u32_u24_e32 v13, 0x23c, v31
	v_lshlrev_b32_sdwa v14, v14, v32 dst_sel:DWORD dst_unused:UNUSED_PAD src0_sel:DWORD src1_sel:BYTE_0
	v_add_f16_e32 v40, v40, v44
	v_add_f16_e32 v39, v39, v43
	;; [unrolled: 1-line block ×3, first 2 shown]
	v_add3_u32 v13, 0, v13, v14
	v_pack_b32_f16 v14, v22, v25
	v_pack_b32_f16 v11, v11, v12
	;; [unrolled: 1-line block ×3, first 2 shown]
	v_add_f16_e32 v36, v36, v40
	v_add_f16_e32 v35, v35, v39
	;; [unrolled: 1-line block ×3, first 2 shown]
	ds_write2_b32 v13, v20, v14 offset1:13
	v_pack_b32_f16 v14, v23, v26
	v_pack_b32_f16 v15, v27, v30
	ds_write2_b32 v13, v11, v12 offset0:78 offset1:91
	v_pack_b32_f16 v11, v24, v28
	v_pack_b32_f16 v12, v18, v19
	ds_write2_b32 v13, v14, v15 offset0:26 offset1:39
	;; [unrolled: 3-line block ×3, first 2 shown]
	v_pack_b32_f16 v11, v16, v17
	ds_write2_b32 v13, v14, v15 offset0:52 offset1:65
	ds_write_b32 v13, v11 offset:520
	s_waitcnt lgkmcnt(0)
	s_barrier
	s_and_saveexec_b64 s[20:21], vcc
	s_cbranch_execz .LBB0_17
; %bb.16:
	v_mul_u32_u24_e32 v6, 10, v6
	v_lshlrev_b32_e32 v6, 2, v6
	global_load_dwordx2 v[19:20], v6, s[12:13] offset:552
	global_load_dwordx4 v[11:14], v6, s[12:13] offset:520
	global_load_dwordx4 v[15:18], v6, s[12:13] offset:536
	v_mul_lo_u32 v29, s3, v4
	v_mul_lo_u32 v30, s2, v5
	v_mad_u64_u32 v[5:6], s[2:3], s2, v4, 0
	ds_read_b32 v4, v8 offset:5720
	ds_read2_b32 v[21:22], v8 offset1:143
	ds_read2_b32 v[23:24], v10 offset0:56 offset1:199
	ds_read2_b32 v[8:9], v9 offset0:30 offset1:173
	ds_read2_b32 v[25:26], v7 offset0:90 offset1:233
	ds_read2_b32 v[27:28], v0 offset0:60 offset1:203
	v_add3_u32 v6, v6, v30, v29
	s_movk_i32 s2, 0x3a0c
	v_lshlrev_b64 v[5:6], 2, v[5:6]
	v_add_co_u32_e32 v5, vcc, s10, v5
	s_waitcnt vmcnt(2)
	v_lshrrev_b32_e32 v7, 16, v20
	s_waitcnt lgkmcnt(5)
	v_mul_f16_sdwa v10, v20, v4 dst_sel:DWORD dst_unused:UNUSED_PAD src0_sel:DWORD src1_sel:WORD_1
	s_waitcnt vmcnt(1)
	v_lshrrev_b32_e32 v29, 16, v11
	s_waitcnt lgkmcnt(4)
	v_mul_f16_sdwa v33, v11, v22 dst_sel:DWORD dst_unused:UNUSED_PAD src0_sel:DWORD src1_sel:WORD_1
	v_lshrrev_b32_e32 v0, 16, v19
	v_lshrrev_b32_e32 v30, 16, v12
	s_waitcnt lgkmcnt(3)
	v_mul_f16_sdwa v34, v19, v24 dst_sel:DWORD dst_unused:UNUSED_PAD src0_sel:DWORD src1_sel:WORD_1
	s_waitcnt lgkmcnt(2)
	v_mul_f16_sdwa v35, v12, v8 dst_sel:DWORD dst_unused:UNUSED_PAD src0_sel:DWORD src1_sel:WORD_1
	v_fma_f16 v10, v7, v4, v10
	v_fma_f16 v33, v29, v22, v33
	v_mul_f16_sdwa v29, v29, v22 dst_sel:DWORD dst_unused:UNUSED_PAD src0_sel:DWORD src1_sel:WORD_1
	v_mul_f16_sdwa v7, v7, v4 dst_sel:DWORD dst_unused:UNUSED_PAD src0_sel:DWORD src1_sel:WORD_1
	v_lshrrev_b32_e32 v31, 16, v13
	s_waitcnt vmcnt(0)
	v_lshrrev_b32_e32 v39, 16, v18
	v_mul_f16_sdwa v40, v18, v23 dst_sel:DWORD dst_unused:UNUSED_PAD src0_sel:DWORD src1_sel:WORD_1
	v_mul_f16_sdwa v41, v13, v9 dst_sel:DWORD dst_unused:UNUSED_PAD src0_sel:DWORD src1_sel:WORD_1
	v_fma_f16 v34, v0, v24, v34
	v_fma_f16 v35, v30, v8, v35
	v_mul_f16_sdwa v30, v30, v8 dst_sel:DWORD dst_unused:UNUSED_PAD src0_sel:DWORD src1_sel:WORD_1
	v_mul_f16_sdwa v0, v0, v24 dst_sel:DWORD dst_unused:UNUSED_PAD src0_sel:DWORD src1_sel:WORD_1
	v_add_f16_e32 v46, v10, v33
	v_fma_f16 v11, v11, v22, -v29
	v_fma_f16 v4, v4, v20, -v7
	v_lshrrev_b32_e32 v32, 16, v14
	v_lshrrev_b32_e32 v37, 16, v16
	;; [unrolled: 1-line block ×3, first 2 shown]
	s_waitcnt lgkmcnt(1)
	v_mul_f16_sdwa v42, v17, v26 dst_sel:DWORD dst_unused:UNUSED_PAD src0_sel:DWORD src1_sel:WORD_1
	s_waitcnt lgkmcnt(0)
	v_mul_f16_sdwa v43, v14, v27 dst_sel:DWORD dst_unused:UNUSED_PAD src0_sel:DWORD src1_sel:WORD_1
	v_mul_f16_sdwa v44, v16, v25 dst_sel:DWORD dst_unused:UNUSED_PAD src0_sel:DWORD src1_sel:WORD_1
	v_fma_f16 v40, v39, v23, v40
	v_fma_f16 v41, v31, v9, v41
	v_mul_f16_sdwa v31, v31, v9 dst_sel:DWORD dst_unused:UNUSED_PAD src0_sel:DWORD src1_sel:WORD_1
	v_mul_f16_sdwa v39, v39, v23 dst_sel:DWORD dst_unused:UNUSED_PAD src0_sel:DWORD src1_sel:WORD_1
	v_add_f16_e32 v7, v34, v35
	v_fma_f16 v8, v12, v8, -v30
	v_fma_f16 v0, v24, v19, -v0
	v_mul_f16_e32 v20, 0xbbad, v46
	v_sub_f16_e32 v22, v11, v4
	v_lshrrev_b32_e32 v36, 16, v15
	v_mul_f16_sdwa v45, v15, v28 dst_sel:DWORD dst_unused:UNUSED_PAD src0_sel:DWORD src1_sel:WORD_1
	v_fma_f16 v42, v38, v26, v42
	v_fma_f16 v43, v32, v27, v43
	v_mul_f16_sdwa v32, v32, v27 dst_sel:DWORD dst_unused:UNUSED_PAD src0_sel:DWORD src1_sel:WORD_1
	v_mul_f16_sdwa v38, v38, v26 dst_sel:DWORD dst_unused:UNUSED_PAD src0_sel:DWORD src1_sel:WORD_1
	v_fma_f16 v44, v37, v25, v44
	v_mul_f16_sdwa v37, v37, v25 dst_sel:DWORD dst_unused:UNUSED_PAD src0_sel:DWORD src1_sel:WORD_1
	v_add_f16_e32 v12, v40, v41
	v_fma_f16 v9, v13, v9, -v31
	v_fma_f16 v13, v23, v18, -v39
	v_mul_f16_e32 v23, 0x3abb, v7
	v_sub_f16_e32 v24, v8, v0
	v_fma_f16 v31, v22, s17, v20
	v_fma_f16 v45, v36, v28, v45
	v_mul_f16_sdwa v36, v36, v28 dst_sel:DWORD dst_unused:UNUSED_PAD src0_sel:DWORD src1_sel:WORD_1
	v_add_f16_e32 v18, v42, v43
	v_fma_f16 v14, v14, v27, -v32
	v_fma_f16 v17, v26, v17, -v38
	;; [unrolled: 1-line block ×3, first 2 shown]
	v_mul_f16_e32 v25, 0xb93d, v12
	v_sub_f16_e32 v26, v9, v13
	v_fma_f16 v32, v24, s9, v23
	v_add_f16_sdwa v31, v31, v21 dst_sel:DWORD dst_unused:UNUSED_PAD src0_sel:DWORD src1_sel:WORD_1
	v_add_f16_e32 v19, v44, v45
	v_fma_f16 v15, v15, v28, -v36
	v_mul_f16_e32 v27, 0x36a6, v18
	v_sub_f16_e32 v28, v14, v17
	v_fma_f16 v36, v26, s2, v25
	v_add_f16_e32 v31, v31, v32
	v_mul_f16_e32 v29, 0xb08e, v19
	v_sub_f16_e32 v30, v15, v16
	v_fma_f16 v37, v28, s14, v27
	v_add_f16_e32 v31, v31, v36
	v_sub_f16_e32 v36, v33, v10
	v_fma_f16 v20, v22, s15, v20
	v_fma_f16 v38, v30, s18, v29
	v_add_f16_e32 v31, v31, v37
	v_add_f16_e32 v32, v4, v11
	v_mul_f16_e32 v37, 0xb482, v36
	v_sub_f16_e32 v47, v35, v34
	v_add_f16_sdwa v20, v20, v21 dst_sel:DWORD dst_unused:UNUSED_PAD src0_sel:DWORD src1_sel:WORD_1
	v_fma_f16 v23, v24, s16, v23
	v_add_f16_e32 v31, v31, v38
	v_fma_f16 v38, v32, s6, v37
	v_add_f16_e32 v39, v0, v8
	v_mul_f16_e32 v48, 0x3853, v47
	v_add_f16_e32 v20, v20, v23
	v_fma_f16 v23, v26, s8, v25
	v_add_f16_e32 v38, v38, v21
	v_fma_f16 v49, v39, s0, v48
	v_sub_f16_e32 v50, v41, v40
	v_add_f16_e32 v20, v20, v23
	v_fma_f16 v23, v28, s19, v27
	v_add_f16_e32 v38, v38, v49
	v_add_f16_e32 v49, v13, v9
	v_mul_f16_e32 v51, 0xba0c, v50
	v_add_f16_e32 v20, v20, v23
	v_fma_f16 v23, v30, s7, v29
	v_fma_f16 v52, v49, s5, v51
	v_sub_f16_e32 v53, v43, v42
	v_add_f16_e32 v20, v20, v23
	v_fma_f16 v23, v32, s6, -v37
	v_add_f16_e32 v38, v38, v52
	v_add_f16_e32 v52, v17, v14
	v_mul_f16_e32 v54, 0x3b47, v53
	v_add_f16_e32 v23, v23, v21
	v_fma_f16 v25, v39, s0, -v48
	v_fma_f16 v55, v52, s1, v54
	v_sub_f16_e32 v56, v45, v44
	v_add_f16_e32 v23, v23, v25
	v_fma_f16 v25, v49, s5, -v51
	v_add_f16_e32 v38, v38, v55
	v_add_f16_e32 v55, v16, v15
	v_mul_f16_e32 v57, 0xbbeb, v56
	v_add_f16_e32 v23, v23, v25
	v_fma_f16 v25, v52, s1, -v54
	v_add_f16_e32 v23, v23, v25
	v_fma_f16 v25, v55, s4, -v57
	v_add_f16_e32 v23, v23, v25
	v_mul_f16_e32 v25, 0xba0c, v22
	v_fma_f16 v27, v46, s5, v25
	v_mul_f16_e32 v29, 0x3beb, v24
	v_add_f16_sdwa v27, v27, v21 dst_sel:DWORD dst_unused:UNUSED_PAD src0_sel:DWORD src1_sel:WORD_1
	v_fma_f16 v37, v7, s4, v29
	v_add_f16_e32 v27, v27, v37
	v_mul_f16_e32 v37, 0xb853, v26
	v_fma_f16 v48, v12, s0, v37
	v_add_f16_e32 v27, v27, v48
	v_mul_f16_e32 v48, 0xb482, v28
	;; [unrolled: 3-line block ×3, first 2 shown]
	v_fma_f16 v54, v19, s1, v51
	v_fma_f16 v58, v55, s4, v57
	v_add_f16_e32 v27, v27, v54
	v_mul_f16_e32 v54, 0xba0c, v36
	v_add_f16_e32 v38, v38, v58
	v_fma_f16 v57, v32, s5, -v54
	v_mul_f16_e32 v58, 0x3beb, v47
	v_add_f16_e32 v57, v57, v21
	v_fma_f16 v59, v39, s4, -v58
	v_add_f16_e32 v57, v57, v59
	v_mul_f16_e32 v59, 0xb853, v50
	v_fma_f16 v60, v49, s0, -v59
	v_add_f16_e32 v57, v57, v60
	v_mul_f16_e32 v60, 0xb482, v53
	;; [unrolled: 3-line block ×4, first 2 shown]
	v_fma_f16 v63, v46, s4, v62
	v_mul_f16_e32 v64, 0x3482, v24
	v_add_f16_sdwa v63, v63, v21 dst_sel:DWORD dst_unused:UNUSED_PAD src0_sel:DWORD src1_sel:WORD_1
	v_fma_f16 v65, v7, s6, v64
	v_add_f16_e32 v63, v63, v65
	v_mul_f16_e32 v65, 0x3b47, v26
	v_fma_f16 v66, v12, s1, v65
	v_add_f16_e32 v63, v63, v66
	v_mul_f16_e32 v66, 0xb853, v28
	;; [unrolled: 3-line block ×4, first 2 shown]
	v_fma_f16 v69, v32, s4, -v68
	v_mul_f16_e32 v70, 0x3482, v47
	v_add_f16_e32 v69, v69, v21
	v_fma_f16 v71, v39, s6, -v70
	v_add_f16_e32 v69, v69, v71
	v_mul_f16_e32 v71, 0x3b47, v50
	v_fma_f16 v72, v49, s1, -v71
	v_add_f16_e32 v69, v69, v72
	v_mul_f16_e32 v72, 0xb853, v53
	;; [unrolled: 3-line block ×3, first 2 shown]
	v_fma_f16 v25, v46, s5, -v25
	v_fma_f16 v74, v55, s5, -v73
	v_add_f16_sdwa v25, v25, v21 dst_sel:DWORD dst_unused:UNUSED_PAD src0_sel:DWORD src1_sel:WORD_1
	v_fma_f16 v29, v7, s4, -v29
	v_add_f16_e32 v69, v69, v74
	v_mul_f16_e32 v74, 0xbb47, v22
	v_add_f16_e32 v25, v25, v29
	v_fma_f16 v29, v12, s0, -v37
	v_fma_f16 v75, v46, s1, v74
	v_mul_f16_e32 v76, 0xba0c, v24
	v_add_f16_e32 v25, v25, v29
	v_fma_f16 v29, v18, s6, -v48
	v_add_f16_sdwa v75, v75, v21 dst_sel:DWORD dst_unused:UNUSED_PAD src0_sel:DWORD src1_sel:WORD_1
	v_fma_f16 v77, v7, s5, v76
	v_add_f16_e32 v25, v25, v29
	v_fma_f16 v29, v19, s1, -v51
	v_add_f16_e32 v75, v75, v77
	v_mul_f16_e32 v77, 0x3482, v26
	v_add_f16_e32 v25, v25, v29
	v_fma_f16 v29, v32, s5, v54
	v_fma_f16 v78, v12, s6, v77
	v_add_f16_e32 v29, v29, v21
	v_fma_f16 v37, v39, s4, v58
	v_add_f16_e32 v75, v75, v78
	v_mul_f16_e32 v78, 0x3beb, v28
	v_add_f16_e32 v29, v29, v37
	v_fma_f16 v37, v49, s0, v59
	v_fma_f16 v79, v18, s4, v78
	v_add_f16_e32 v29, v29, v37
	v_fma_f16 v37, v52, s6, v60
	v_add_f16_e32 v75, v75, v79
	v_mul_f16_e32 v79, 0x3853, v30
	v_add_f16_e32 v29, v29, v37
	v_fma_f16 v37, v55, s1, v61
	v_fma_f16 v80, v19, s0, v79
	v_add_f16_e32 v29, v29, v37
	v_fma_f16 v37, v46, s4, -v62
	v_add_f16_e32 v75, v75, v80
	v_mul_f16_e32 v80, 0xbb47, v36
	v_add_f16_sdwa v37, v37, v21 dst_sel:DWORD dst_unused:UNUSED_PAD src0_sel:DWORD src1_sel:WORD_1
	v_fma_f16 v48, v7, s6, -v64
	v_fma_f16 v81, v32, s1, -v80
	v_mul_f16_e32 v82, 0xba0c, v47
	v_add_f16_e32 v37, v37, v48
	v_fma_f16 v48, v12, s1, -v65
	v_add_f16_e32 v81, v81, v21
	v_fma_f16 v83, v39, s5, -v82
	;; [unrolled: 2-line block ×3, first 2 shown]
	v_add_f16_e32 v81, v81, v83
	v_mul_f16_e32 v83, 0x3482, v50
	v_add_f16_e32 v37, v37, v48
	v_fma_f16 v48, v19, s5, -v67
	v_fma_f16 v84, v49, s6, -v83
	v_add_f16_e32 v37, v37, v48
	v_fma_f16 v48, v32, s4, v68
	v_add_f16_e32 v81, v81, v84
	v_mul_f16_e32 v84, 0x3beb, v53
	v_add_f16_e32 v48, v48, v21
	v_fma_f16 v51, v39, s6, v70
	v_fma_f16 v85, v52, s4, -v84
	v_add_f16_e32 v48, v48, v51
	v_fma_f16 v51, v49, s1, v71
	v_add_f16_e32 v81, v81, v85
	v_mul_f16_e32 v85, 0x3853, v56
	v_add_f16_e32 v48, v48, v51
	v_fma_f16 v51, v52, s0, v72
	v_fma_f16 v86, v55, s0, -v85
	v_mul_f16_e32 v22, 0xb853, v22
	v_add_f16_e32 v48, v48, v51
	v_fma_f16 v51, v55, s5, v73
	v_add_f16_e32 v81, v81, v86
	v_fma_f16 v86, v46, s0, v22
	v_mul_f16_e32 v24, 0xbb47, v24
	v_add_f16_e32 v48, v48, v51
	v_fma_f16 v51, v46, s1, -v74
	v_fma_f16 v22, v46, s0, -v22
	v_add_f16_sdwa v86, v86, v21 dst_sel:DWORD dst_unused:UNUSED_PAD src0_sel:DWORD src1_sel:WORD_1
	v_fma_f16 v87, v7, s1, v24
	v_mul_f16_e32 v26, 0xbbeb, v26
	v_add_f16_sdwa v51, v51, v21 dst_sel:DWORD dst_unused:UNUSED_PAD src0_sel:DWORD src1_sel:WORD_1
	v_fma_f16 v54, v7, s5, -v76
	v_add_f16_sdwa v22, v22, v21 dst_sel:DWORD dst_unused:UNUSED_PAD src0_sel:DWORD src1_sel:WORD_1
	v_fma_f16 v7, v7, s1, -v24
	v_add_f16_e32 v86, v86, v87
	v_fma_f16 v87, v12, s4, v26
	v_mul_f16_e32 v28, 0xba0c, v28
	v_add_f16_e32 v51, v51, v54
	v_fma_f16 v54, v12, s6, -v77
	v_add_f16_e32 v7, v22, v7
	v_fma_f16 v12, v12, s4, -v26
	v_mul_f16_e32 v30, 0xb482, v30
	v_add_f16_e32 v7, v7, v12
	v_fma_f16 v12, v18, s5, -v28
	v_mul_f16_e32 v36, 0xb853, v36
	;; [unrolled: 3-line block ×3, first 2 shown]
	v_add_f16_e32 v7, v7, v12
	v_fma_f16 v12, v32, s0, v36
	v_add_f16_e32 v86, v86, v87
	v_fma_f16 v87, v18, s5, v28
	v_mul_f16_e32 v50, 0xbbeb, v50
	v_add_f16_e32 v51, v51, v54
	v_fma_f16 v54, v18, s4, -v78
	v_add_f16_e32 v12, v12, v21
	v_fma_f16 v18, v39, s1, v47
	v_mul_f16_e32 v53, 0xba0c, v53
	v_add_f16_e32 v12, v12, v18
	v_fma_f16 v18, v49, s4, v50
	v_mul_f16_e32 v56, 0xb482, v56
	v_add_f16_e32 v12, v12, v18
	v_fma_f16 v18, v52, s5, v53
	v_add_f16_e32 v12, v12, v18
	v_fma_f16 v18, v55, s6, v56
	v_add_f16_e32 v12, v12, v18
	v_add_f16_sdwa v18, v33, v21 dst_sel:DWORD dst_unused:UNUSED_PAD src0_sel:DWORD src1_sel:WORD_1
	v_add_f16_e32 v11, v11, v21
	v_add_f16_e32 v18, v18, v35
	;; [unrolled: 1-line block ×17, first 2 shown]
	v_add_f16_sdwa v10, v10, v18 dst_sel:WORD_1 dst_unused:UNUSED_PAD src0_sel:DWORD src1_sel:DWORD
	v_add_f16_e32 v0, v4, v0
	v_add_f16_e32 v86, v86, v87
	v_fma_f16 v87, v19, s6, v30
	v_or_b32_e32 v8, v10, v0
	v_mov_b32_e32 v0, s11
	v_add_f16_e32 v86, v86, v87
	v_fma_f16 v87, v32, s0, -v36
	v_addc_co_u32_e32 v6, vcc, v0, v6, vcc
	v_lshlrev_b64 v[0:1], 2, v[1:2]
	v_add_f16_e32 v87, v87, v21
	v_fma_f16 v88, v39, s1, -v47
	v_add_f16_e32 v87, v87, v88
	v_fma_f16 v88, v49, s4, -v50
	v_mov_b32_e32 v4, 0
	v_add_co_u32_e32 v2, vcc, v5, v0
	v_add_f16_e32 v87, v87, v88
	v_fma_f16 v88, v52, s5, -v53
	v_addc_co_u32_e32 v5, vcc, v6, v1, vcc
	v_lshlrev_b64 v[0:1], 2, v[3:4]
	v_add_f16_e32 v87, v87, v88
	v_fma_f16 v88, v55, s6, -v56
	v_add_f16_e32 v87, v87, v88
	v_add_co_u32_e32 v0, vcc, v2, v0
	v_addc_co_u32_e32 v1, vcc, v5, v1, vcc
	v_pack_b32_f16 v2, v87, v86
	global_store_dword v[0:1], v2, off offset:572
	v_pack_b32_f16 v2, v81, v75
	v_add_f16_e32 v51, v51, v54
	v_fma_f16 v54, v19, s0, -v79
	global_store_dword v[0:1], v2, off offset:1144
	v_pack_b32_f16 v2, v69, v63
	v_add_f16_e32 v51, v51, v54
	v_fma_f16 v54, v32, s1, v80
	global_store_dword v[0:1], v2, off offset:1716
	v_pack_b32_f16 v2, v57, v27
	v_add_f16_e32 v54, v54, v21
	v_fma_f16 v58, v39, s5, v82
	;; [unrolled: 4-line block ×5, first 2 shown]
	global_store_dword v[0:1], v8, off
	global_store_dword v[0:1], v2, off offset:4004
	v_add_co_u32_e32 v0, vcc, 0x1000, v0
	v_add_f16_e32 v54, v54, v58
	v_pack_b32_f16 v2, v48, v37
	v_addc_co_u32_e32 v1, vcc, 0, v1, vcc
	global_store_dword v[0:1], v2, off offset:480
	v_pack_b32_f16 v2, v54, v51
	global_store_dword v[0:1], v2, off offset:1052
	v_pack_b32_f16 v2, v12, v7
	global_store_dword v[0:1], v2, off offset:1624
.LBB0_17:
	s_endpgm
	.section	.rodata,"a",@progbits
	.p2align	6, 0x0
	.amdhsa_kernel fft_rtc_fwd_len1573_factors_13_11_11_wgs_143_tpt_143_half_op_CI_CI_unitstride_sbrr_dirReg
		.amdhsa_group_segment_fixed_size 0
		.amdhsa_private_segment_fixed_size 0
		.amdhsa_kernarg_size 104
		.amdhsa_user_sgpr_count 6
		.amdhsa_user_sgpr_private_segment_buffer 1
		.amdhsa_user_sgpr_dispatch_ptr 0
		.amdhsa_user_sgpr_queue_ptr 0
		.amdhsa_user_sgpr_kernarg_segment_ptr 1
		.amdhsa_user_sgpr_dispatch_id 0
		.amdhsa_user_sgpr_flat_scratch_init 0
		.amdhsa_user_sgpr_private_segment_size 0
		.amdhsa_uses_dynamic_stack 0
		.amdhsa_system_sgpr_private_segment_wavefront_offset 0
		.amdhsa_system_sgpr_workgroup_id_x 1
		.amdhsa_system_sgpr_workgroup_id_y 0
		.amdhsa_system_sgpr_workgroup_id_z 0
		.amdhsa_system_sgpr_workgroup_info 0
		.amdhsa_system_vgpr_workitem_id 0
		.amdhsa_next_free_vgpr 128
		.amdhsa_next_free_sgpr 28
		.amdhsa_reserve_vcc 1
		.amdhsa_reserve_flat_scratch 0
		.amdhsa_float_round_mode_32 0
		.amdhsa_float_round_mode_16_64 0
		.amdhsa_float_denorm_mode_32 3
		.amdhsa_float_denorm_mode_16_64 3
		.amdhsa_dx10_clamp 1
		.amdhsa_ieee_mode 1
		.amdhsa_fp16_overflow 0
		.amdhsa_exception_fp_ieee_invalid_op 0
		.amdhsa_exception_fp_denorm_src 0
		.amdhsa_exception_fp_ieee_div_zero 0
		.amdhsa_exception_fp_ieee_overflow 0
		.amdhsa_exception_fp_ieee_underflow 0
		.amdhsa_exception_fp_ieee_inexact 0
		.amdhsa_exception_int_div_zero 0
	.end_amdhsa_kernel
	.text
.Lfunc_end0:
	.size	fft_rtc_fwd_len1573_factors_13_11_11_wgs_143_tpt_143_half_op_CI_CI_unitstride_sbrr_dirReg, .Lfunc_end0-fft_rtc_fwd_len1573_factors_13_11_11_wgs_143_tpt_143_half_op_CI_CI_unitstride_sbrr_dirReg
                                        ; -- End function
	.section	.AMDGPU.csdata,"",@progbits
; Kernel info:
; codeLenInByte = 9580
; NumSgprs: 32
; NumVgprs: 128
; ScratchSize: 0
; MemoryBound: 0
; FloatMode: 240
; IeeeMode: 1
; LDSByteSize: 0 bytes/workgroup (compile time only)
; SGPRBlocks: 3
; VGPRBlocks: 31
; NumSGPRsForWavesPerEU: 32
; NumVGPRsForWavesPerEU: 128
; Occupancy: 2
; WaveLimiterHint : 1
; COMPUTE_PGM_RSRC2:SCRATCH_EN: 0
; COMPUTE_PGM_RSRC2:USER_SGPR: 6
; COMPUTE_PGM_RSRC2:TRAP_HANDLER: 0
; COMPUTE_PGM_RSRC2:TGID_X_EN: 1
; COMPUTE_PGM_RSRC2:TGID_Y_EN: 0
; COMPUTE_PGM_RSRC2:TGID_Z_EN: 0
; COMPUTE_PGM_RSRC2:TIDIG_COMP_CNT: 0
	.type	__hip_cuid_42079617d8abbd61,@object ; @__hip_cuid_42079617d8abbd61
	.section	.bss,"aw",@nobits
	.globl	__hip_cuid_42079617d8abbd61
__hip_cuid_42079617d8abbd61:
	.byte	0                               ; 0x0
	.size	__hip_cuid_42079617d8abbd61, 1

	.ident	"AMD clang version 19.0.0git (https://github.com/RadeonOpenCompute/llvm-project roc-6.4.0 25133 c7fe45cf4b819c5991fe208aaa96edf142730f1d)"
	.section	".note.GNU-stack","",@progbits
	.addrsig
	.addrsig_sym __hip_cuid_42079617d8abbd61
	.amdgpu_metadata
---
amdhsa.kernels:
  - .args:
      - .actual_access:  read_only
        .address_space:  global
        .offset:         0
        .size:           8
        .value_kind:     global_buffer
      - .offset:         8
        .size:           8
        .value_kind:     by_value
      - .actual_access:  read_only
        .address_space:  global
        .offset:         16
        .size:           8
        .value_kind:     global_buffer
      - .actual_access:  read_only
        .address_space:  global
        .offset:         24
        .size:           8
        .value_kind:     global_buffer
      - .actual_access:  read_only
        .address_space:  global
        .offset:         32
        .size:           8
        .value_kind:     global_buffer
      - .offset:         40
        .size:           8
        .value_kind:     by_value
      - .actual_access:  read_only
        .address_space:  global
        .offset:         48
        .size:           8
        .value_kind:     global_buffer
      - .actual_access:  read_only
        .address_space:  global
        .offset:         56
        .size:           8
        .value_kind:     global_buffer
      - .offset:         64
        .size:           4
        .value_kind:     by_value
      - .actual_access:  read_only
        .address_space:  global
        .offset:         72
        .size:           8
        .value_kind:     global_buffer
      - .actual_access:  read_only
        .address_space:  global
        .offset:         80
        .size:           8
        .value_kind:     global_buffer
      - .actual_access:  read_only
        .address_space:  global
        .offset:         88
        .size:           8
        .value_kind:     global_buffer
      - .actual_access:  write_only
        .address_space:  global
        .offset:         96
        .size:           8
        .value_kind:     global_buffer
    .group_segment_fixed_size: 0
    .kernarg_segment_align: 8
    .kernarg_segment_size: 104
    .language:       OpenCL C
    .language_version:
      - 2
      - 0
    .max_flat_workgroup_size: 143
    .name:           fft_rtc_fwd_len1573_factors_13_11_11_wgs_143_tpt_143_half_op_CI_CI_unitstride_sbrr_dirReg
    .private_segment_fixed_size: 0
    .sgpr_count:     32
    .sgpr_spill_count: 0
    .symbol:         fft_rtc_fwd_len1573_factors_13_11_11_wgs_143_tpt_143_half_op_CI_CI_unitstride_sbrr_dirReg.kd
    .uniform_work_group_size: 1
    .uses_dynamic_stack: false
    .vgpr_count:     128
    .vgpr_spill_count: 0
    .wavefront_size: 64
amdhsa.target:   amdgcn-amd-amdhsa--gfx906
amdhsa.version:
  - 1
  - 2
...

	.end_amdgpu_metadata
